;; amdgpu-corpus repo=zjin-lcf/HeCBench kind=compiled arch=gfx906 opt=O3
	.amdgcn_target "amdgcn-amd-amdhsa--gfx906"
	.amdhsa_code_object_version 6
	.text
	.protected	_Z14block_matchingPKhPtPj15HIP_vector_typeIjLj2EES4_6ParamsS4_ ; -- Begin function _Z14block_matchingPKhPtPj15HIP_vector_typeIjLj2EES4_6ParamsS4_
	.globl	_Z14block_matchingPKhPtPj15HIP_vector_typeIjLj2EES4_6ParamsS4_
	.p2align	8
	.type	_Z14block_matchingPKhPtPj15HIP_vector_typeIjLj2EES4_6ParamsS4_,@function
_Z14block_matchingPKhPtPj15HIP_vector_typeIjLj2EES4_6ParamsS4_: ; @_Z14block_matchingPKhPtPj15HIP_vector_typeIjLj2EES4_6ParamsS4_
; %bb.0:
	s_load_dwordx2 s[10:11], s[4:5], 0x38
	s_load_dword s22, s[4:5], 0x5c
	s_load_dwordx4 s[16:19], s[4:5], 0x20
	s_load_dword s33, s[4:5], 0x30
	s_load_dwordx2 s[0:1], s[4:5], 0x48
	s_load_dword s43, s[4:5], 0x50
	s_waitcnt lgkmcnt(0)
	s_mul_i32 s44, s11, 31
	s_add_i32 s44, s44, s19
	s_lshl_b32 s2, s33, 5
	s_bfe_u32 s42, s22, 0xb0005
	s_add_i32 s8, s44, s2
	s_mul_i32 s2, s42, s8
	s_lshl_b32 s2, s2, 2
	s_add_i32 s9, s2, 0
	s_mul_i32 s2, s11, s7
	s_add_i32 s45, s1, s2
	s_cmp_lt_u32 s45, s17
	s_cselect_b64 s[2:3], -1, 0
	v_add_u32_e32 v3, s9, v0
	v_mov_b32_e32 v1, 0
	s_and_b64 vcc, exec, s[2:3]
	ds_write_b8 v3, v1
	s_cbranch_vccnz .LBB0_2
; %bb.1:
	s_add_i32 s1, s17, -1
	s_add_i32 s2, s1, s11
	s_cmp_lt_u32 s45, s2
	s_cselect_b64 s[2:3], -1, 0
	s_mov_b32 s45, s1
.LBB0_2:
	s_andn2_b64 vcc, exec, s[2:3]
	s_cbranch_vccnz .LBB0_65
; %bb.3:
	v_and_b32_e32 v4, 31, v0
	v_mul_lo_u32 v6, s11, v4
	s_load_dwordx2 s[20:21], s[4:5], 0x0
	s_lshl_b32 s6, s6, 5
	s_mul_i32 s1, s11, s6
	s_add_i32 s46, s0, s1
	v_add_u32_e32 v5, s46, v6
	v_cmp_le_u32_e32 vcc, s16, v5
	s_and_saveexec_b64 s[0:1], vcc
; %bb.4:
	s_add_i32 s2, s16, -1
	s_add_i32 s3, s2, s11
	v_sub_u32_e32 v1, s2, v5
	v_cmp_gt_u32_e32 vcc, s3, v5
	v_cndmask_b32_e32 v1, 0, v1, vcc
	v_add_u32_e32 v6, v1, v6
	v_mov_b32_e32 v1, s2
	v_cndmask_b32_e32 v5, v5, v1, vcc
; %bb.5:
	s_or_b64 exec, exec, s[0:1]
	s_load_dwordx4 s[12:15], s[4:5], 0x8
	s_load_dword s47, s[4:5], 0x18
	s_and_b32 s11, s22, 0xffff
	s_mul_i32 s22, s44, s19
	v_cmp_gt_u32_e32 vcc, s22, v0
	s_and_saveexec_b64 s[0:1], vcc
	s_cbranch_execz .LBB0_10
; %bb.6:
	v_cvt_f32_u32_e32 v1, s44
	s_sub_i32 s23, 0, s44
	s_and_b32 s4, s11, 0xffe0
	s_mov_b64 s[2:3], 0
	v_rcp_iflag_f32_e32 v1, v1
	s_add_i32 s9, s9, s4
	v_mul_f32_e32 v1, 0x4f7ffffe, v1
	v_cvt_u32_f32_e32 v1, v1
	v_mul_lo_u32 v2, s23, v1
	v_mul_hi_u32 v2, v1, v2
	v_add_u32_e32 v7, v1, v2
	v_mov_b32_e32 v1, v0
	s_branch .LBB0_8
.LBB0_7:                                ;   in Loop: Header=BB0_8 Depth=1
	s_or_b64 exec, exec, s[4:5]
	v_add_u32_e32 v1, s11, v1
	v_cmp_le_u32_e32 vcc, s22, v1
	s_or_b64 s[2:3], vcc, s[2:3]
	s_andn2_b64 exec, exec, s[2:3]
	s_cbranch_execz .LBB0_10
.LBB0_8:                                ; =>This Inner Loop Header: Depth=1
	v_mul_hi_u32 v2, v7, v1
	v_not_b32_e32 v10, v2
	v_mad_u64_u32 v[8:9], s[4:5], s23, v2, v[1:2]
	v_mad_u64_u32 v[9:10], s[4:5], s44, v10, v[1:2]
	v_add_u32_e32 v10, 1, v2
	v_cmp_le_u32_e32 vcc, s44, v8
	v_cndmask_b32_e32 v2, v2, v10, vcc
	v_cndmask_b32_e32 v8, v8, v9, vcc
	v_add_u32_e32 v9, 1, v2
	v_cmp_le_u32_e32 vcc, s44, v8
	v_cndmask_b32_e32 v8, v2, v9, vcc
	v_add_u32_e32 v2, s46, v1
	v_mad_u64_u32 v[9:10], s[4:5], s23, v8, v[2:3]
	s_waitcnt lgkmcnt(0)
	v_cmp_gt_u32_e32 vcc, s47, v9
	s_and_saveexec_b64 s[4:5], vcc
	s_cbranch_execz .LBB0_7
; %bb.9:                                ;   in Loop: Header=BB0_8 Depth=1
	v_mul_lo_u32 v9, v8, s44
	v_add_u32_e32 v8, s45, v8
	v_mul_lo_u32 v8, v8, s47
	v_sub_u32_e32 v8, v8, v9
	v_add_u32_e32 v2, v2, v8
	global_load_ubyte v2, v2, s[20:21]
	v_add_u32_e32 v8, s9, v1
	s_waitcnt vmcnt(0)
	ds_write_b8 v8, v2
	s_branch .LBB0_7
.LBB0_10:
	s_or_b64 exec, exec, s[0:1]
	s_sub_i32 s0, 0, s45
	s_sub_i32 s2, 0, s18
	s_cmp_lt_i32 s45, s18
	s_cselect_b32 s49, s0, s2
	s_mul_i32 s48, s42, s44
	s_cmp_gt_i32 s49, s18
	v_cmp_gt_u32_e64 s[0:1], s16, v5
	s_waitcnt lgkmcnt(0)
	s_barrier
	s_cbranch_scc1 .LBB0_50
; %bb.11:
	s_flbit_i32_b32 s3, s10
	s_min_u32 s3, s3, 32
	s_sub_i32 s3, 16, s3
	s_cmpk_gt_u32 s10, 0xffff
	s_cselect_b32 s50, s3, 0
	s_sub_i32 s3, 0, s46
	s_cmp_lt_i32 s46, s18
	v_lshrrev_b32_e32 v8, 5, v0
	s_cselect_b32 s2, s3, s2
	v_add_u32_e32 v7, s46, v4
	v_add_u32_e32 v1, s2, v8
	s_lshl_b32 s2, s48, 2
	v_cmp_gt_u32_e32 vcc, s44, v4
	v_cmp_gt_u32_e64 s[4:5], s47, v7
	s_add_i32 s9, s2, 0
	s_and_b64 s[22:23], vcc, s[4:5]
	v_mul_lo_u32 v7, s33, v0
	s_cmp_lg_u32 s19, 0
	s_cselect_b64 s[4:5], -1, 0
	s_cmp_gt_u32 s33, 1
	s_cselect_b64 s[24:25], -1, 0
	s_max_i32 s26, s45, s18
	v_mul_lo_u32 v2, s44, v8
	s_sub_i32 s26, s26, s18
	s_lshl_b32 s8, s8, 2
	v_lshl_add_u32 v7, v7, 2, s9
	s_max_i32 s9, s18, s46
	s_mul_i32 s26, s47, s26
	s_add_i32 s8, s8, 32
	s_add_i32 s26, s26, s9
	s_mul_i32 s8, s42, s8
	v_add3_u32 v8, s26, v8, v4
	s_add_i32 s8, s8, 0
	v_cndmask_b32_e64 v11, 0, 1, s[4:5]
	v_lshl_add_u32 v2, v2, 2, 0
	v_cmp_ge_i32_e64 s[2:3], s18, v1
	v_subrev_u32_e32 v8, s18, v8
	v_add_u32_e32 v9, s8, v4
	v_add_u32_e32 v10, -4, v7
	v_cmp_ne_u32_e64 s[4:5], 1, v11
	v_mov_b32_e32 v11, 0
	s_branch .LBB0_13
.LBB0_12:                               ;   in Loop: Header=BB0_13 Depth=1
	s_or_b64 exec, exec, s[26:27]
	s_add_i32 s26, s49, 1
	s_cmp_ge_i32 s49, s18
	v_add_u32_e32 v8, s47, v8
	s_cselect_b64 s[8:9], -1, 0
	s_mov_b32 s49, s26
	s_and_b64 vcc, exec, s[8:9]
	s_cbranch_vccnz .LBB0_50
.LBB0_13:                               ; =>This Loop Header: Depth=1
                                        ;     Child Loop BB0_20 Depth 2
                                        ;       Child Loop BB0_25 Depth 3
                                        ;         Child Loop BB0_28 Depth 4
                                        ;       Child Loop BB0_32 Depth 3
                                        ;       Child Loop BB0_39 Depth 3
	;; [unrolled: 1-line block ×3, first 2 shown]
	s_add_i32 s8, s49, s45
	s_cmp_ge_u32 s8, s17
	s_cbranch_scc1 .LBB0_16
; %bb.14:                               ;   in Loop: Header=BB0_13 Depth=1
	s_and_saveexec_b64 s[26:27], s[2:3]
	s_cbranch_execz .LBB0_12
; %bb.15:                               ;   in Loop: Header=BB0_13 Depth=1
	s_lshl_b32 s8, s49, 8
	s_and_b32 s51, s8, 0xff00
	s_mov_b64 s[28:29], 0
	v_mov_b32_e32 v12, v8
	v_mov_b32_e32 v13, v1
	s_branch .LBB0_20
.LBB0_16:                               ;   in Loop: Header=BB0_13 Depth=1
                                        ; implicit-def: $sgpr49
                                        ; implicit-def: $vgpr8
	s_cbranch_execz .LBB0_13
	s_branch .LBB0_50
.LBB0_17:                               ;   in Loop: Header=BB0_20 Depth=2
	s_or_b64 exec, exec, s[34:35]
.LBB0_18:                               ;   in Loop: Header=BB0_20 Depth=2
	s_or_b64 exec, exec, s[8:9]
	v_lshl_add_u32 v16, v19, 2, v7
	v_add_u16_e32 v15, 1, v15
	ds_write_b32 v16, v14
	ds_write_b8 v3, v15
.LBB0_19:                               ;   in Loop: Header=BB0_20 Depth=2
	s_or_b64 exec, exec, s[30:31]
	v_add_u32_e32 v13, s42, v13
	v_cmp_lt_i32_e32 vcc, s18, v13
	s_or_b64 s[28:29], vcc, s[28:29]
	v_add_u32_e32 v12, s42, v12
	s_andn2_b64 exec, exec, s[28:29]
	s_cbranch_execz .LBB0_12
.LBB0_20:                               ;   Parent Loop BB0_13 Depth=1
                                        ; =>  This Loop Header: Depth=2
                                        ;       Child Loop BB0_25 Depth 3
                                        ;         Child Loop BB0_28 Depth 4
                                        ;       Child Loop BB0_32 Depth 3
                                        ;       Child Loop BB0_39 Depth 3
	;; [unrolled: 1-line block ×3, first 2 shown]
	v_or_b32_e32 v14, s49, v13
	v_cmp_ne_u32_e32 vcc, 0, v14
	s_and_saveexec_b64 s[30:31], vcc
	s_cbranch_execz .LBB0_19
; %bb.21:                               ;   in Loop: Header=BB0_20 Depth=2
	v_add_u32_e32 v14, s46, v13
	s_and_saveexec_b64 s[34:35], s[22:23]
	s_cbranch_execz .LBB0_29
; %bb.22:                               ;   in Loop: Header=BB0_20 Depth=2
	s_mov_b64 s[36:37], 0
	v_mov_b32_e32 v15, v9
	v_mov_b32_e32 v16, v12
	v_mov_b32_e32 v17, v4
                                        ; implicit-def: $sgpr38_sgpr39
	s_branch .LBB0_25
.LBB0_23:                               ;   in Loop: Header=BB0_25 Depth=3
	v_lshl_add_u32 v19, v17, 2, v2
	v_add_u32_e32 v17, 32, v17
	ds_write_b32 v19, v18
	v_add_u32_e32 v18, s46, v17
	v_cmp_le_u32_e32 vcc, s44, v17
	v_cmp_le_u32_e64 s[8:9], s47, v18
	s_or_b64 s[8:9], vcc, s[8:9]
	s_andn2_b64 s[38:39], s[38:39], exec
	s_and_b64 s[8:9], s[8:9], exec
	v_add_u32_e32 v16, 32, v16
	v_add_u32_e32 v15, 32, v15
	s_or_b64 s[38:39], s[38:39], s[8:9]
.LBB0_24:                               ;   in Loop: Header=BB0_25 Depth=3
	s_or_b64 exec, exec, s[40:41]
	s_and_b64 s[8:9], exec, s[38:39]
	s_or_b64 s[36:37], s[8:9], s[36:37]
	s_andn2_b64 exec, exec, s[36:37]
	s_cbranch_execz .LBB0_29
.LBB0_25:                               ;   Parent Loop BB0_13 Depth=1
                                        ;     Parent Loop BB0_20 Depth=2
                                        ; =>    This Loop Header: Depth=3
                                        ;         Child Loop BB0_28 Depth 4
	v_add_u32_e32 v18, v17, v14
	v_cmp_gt_u32_e32 vcc, s47, v18
	s_or_b64 s[38:39], s[38:39], exec
	s_and_saveexec_b64 s[40:41], vcc
	s_cbranch_execz .LBB0_24
; %bb.26:                               ;   in Loop: Header=BB0_25 Depth=3
	v_mov_b32_e32 v18, 0
	s_and_b64 vcc, exec, s[4:5]
	s_cbranch_vccnz .LBB0_23
; %bb.27:                               ;   in Loop: Header=BB0_25 Depth=3
	v_mov_b32_e32 v19, v15
	v_mov_b32_e32 v20, v16
	s_mov_b32 s8, s19
.LBB0_28:                               ;   Parent Loop BB0_13 Depth=1
                                        ;     Parent Loop BB0_20 Depth=2
                                        ;       Parent Loop BB0_25 Depth=3
                                        ; =>      This Inner Loop Header: Depth=4
	global_load_ubyte v21, v20, s[20:21]
	ds_read_u8 v22, v19
	s_add_i32 s8, s8, -1
	v_add_u32_e32 v20, s47, v20
	v_add_u32_e32 v19, s44, v19
	s_cmp_eq_u32 s8, 0
	s_waitcnt vmcnt(0) lgkmcnt(0)
	v_sub_u32_e32 v21, v22, v21
	v_mad_i32_i24 v18, v21, v21, v18
	s_cbranch_scc0 .LBB0_28
	s_branch .LBB0_23
.LBB0_29:                               ;   in Loop: Header=BB0_20 Depth=2
	s_or_b64 exec, exec, s[34:35]
	v_add_u32_e32 v14, v14, v6
	v_cmp_gt_u32_e32 vcc, s16, v14
	s_and_b64 s[8:9], s[0:1], vcc
	s_and_b64 exec, exec, s[8:9]
	s_cbranch_execz .LBB0_19
; %bb.30:                               ;   in Loop: Header=BB0_20 Depth=2
	v_mov_b32_e32 v16, 0
	s_and_b64 vcc, exec, s[4:5]
	s_cbranch_vccnz .LBB0_33
; %bb.31:                               ;   in Loop: Header=BB0_20 Depth=2
	v_lshl_add_u32 v15, v6, 2, v2
	s_mov_b32 s8, s19
.LBB0_32:                               ;   Parent Loop BB0_13 Depth=1
                                        ;     Parent Loop BB0_20 Depth=2
                                        ; =>    This Inner Loop Header: Depth=3
	ds_read_b32 v17, v15
	s_add_i32 s8, s8, -1
	v_add_u32_e32 v15, 4, v15
	s_cmp_eq_u32 s8, 0
	s_waitcnt lgkmcnt(0)
	v_add_u32_e32 v16, v17, v16
	s_cbranch_scc0 .LBB0_32
.LBB0_33:                               ;   in Loop: Header=BB0_20 Depth=2
	v_cmp_gt_u32_e32 vcc, s10, v16
	s_and_b64 exec, exec, vcc
	s_cbranch_execz .LBB0_19
; %bb.34:                               ;   in Loop: Header=BB0_20 Depth=2
	ds_read_u8 v15, v3
	v_sub_u32_e32 v14, v14, v5
	v_and_b32_e32 v14, 0xff, v14
	v_lshrrev_b32_sdwa v16, s50, v16 dst_sel:WORD_1 dst_unused:UNUSED_PAD src0_sel:DWORD src1_sel:DWORD
	v_or3_b32 v14, v16, s51, v14
	s_waitcnt lgkmcnt(0)
	v_and_b32_e32 v16, 0xff, v15
	v_cmp_le_u32_e32 vcc, s33, v16
	s_and_saveexec_b64 s[8:9], vcc
	s_xor_b64 s[8:9], exec, s[8:9]
	s_cbranch_execz .LBB0_44
; %bb.35:                               ;   in Loop: Header=BB0_20 Depth=2
	ds_read_b32 v15, v7
	s_waitcnt lgkmcnt(0)
	v_cmp_lt_u32_e32 vcc, v14, v15
	s_and_saveexec_b64 s[34:35], vcc
	s_cbranch_execz .LBB0_43
; %bb.36:                               ;   in Loop: Header=BB0_20 Depth=2
	s_mov_b32 s52, 1
	s_andn2_b64 vcc, exec, s[24:25]
	v_mov_b32_e32 v16, 1
	s_cbranch_vccnz .LBB0_42
; %bb.37:                               ;   in Loop: Header=BB0_20 Depth=2
	s_mov_b64 s[36:37], 0
	v_mov_b32_e32 v15, v7
                                        ; implicit-def: $sgpr38_sgpr39
	s_branch .LBB0_39
.LBB0_38:                               ;   in Loop: Header=BB0_39 Depth=3
	s_or_b64 exec, exec, s[40:41]
	s_and_b64 s[40:41], exec, s[38:39]
	s_or_b64 s[36:37], s[40:41], s[36:37]
	v_add_u32_e32 v15, 4, v15
	s_andn2_b64 exec, exec, s[36:37]
	s_cbranch_execz .LBB0_41
.LBB0_39:                               ;   Parent Loop BB0_13 Depth=1
                                        ;     Parent Loop BB0_20 Depth=2
                                        ; =>    This Inner Loop Header: Depth=3
	ds_read_b32 v17, v15 offset:4
	v_mov_b32_e32 v16, s52
	s_or_b64 s[38:39], s[38:39], exec
	s_waitcnt lgkmcnt(0)
	v_cmp_lt_u32_e32 vcc, v14, v17
	s_and_saveexec_b64 s[40:41], vcc
	s_cbranch_execz .LBB0_38
; %bb.40:                               ;   in Loop: Header=BB0_39 Depth=3
	s_add_i32 s52, s52, 1
	s_cmp_eq_u32 s33, s52
	s_cselect_b64 s[54:55], -1, 0
	s_andn2_b64 s[38:39], s[38:39], exec
	s_and_b64 s[54:55], s[54:55], exec
	v_mov_b32_e32 v16, s33
	s_or_b64 s[38:39], s[38:39], s[54:55]
	ds_write_b32 v15, v17
	s_branch .LBB0_38
.LBB0_41:                               ;   in Loop: Header=BB0_20 Depth=2
	s_or_b64 exec, exec, s[36:37]
.LBB0_42:                               ;   in Loop: Header=BB0_20 Depth=2
	v_lshlrev_b32_e32 v15, 2, v16
	v_add3_u32 v15, v7, v15, -4
	ds_write_b32 v15, v14
.LBB0_43:                               ;   in Loop: Header=BB0_20 Depth=2
	s_or_b64 exec, exec, s[34:35]
                                        ; implicit-def: $vgpr15
                                        ; implicit-def: $vgpr14
                                        ; implicit-def: $vgpr16
.LBB0_44:                               ;   in Loop: Header=BB0_20 Depth=2
	s_andn2_saveexec_b64 s[8:9], s[8:9]
	s_cbranch_execz .LBB0_19
; %bb.45:                               ;   in Loop: Header=BB0_20 Depth=2
	v_cmp_ne_u16_sdwa s[34:35], v15, v11 src0_sel:BYTE_0 src1_sel:DWORD
	v_mov_b32_e32 v19, 0
	s_and_saveexec_b64 s[8:9], s[34:35]
	s_cbranch_execz .LBB0_18
; %bb.46:                               ;   in Loop: Header=BB0_20 Depth=2
	v_lshl_add_u32 v17, v16, 2, v10
	s_mov_b64 s[34:35], 0
                                        ; implicit-def: $sgpr36_sgpr37
	s_branch .LBB0_48
.LBB0_47:                               ;   in Loop: Header=BB0_48 Depth=3
	s_or_b64 exec, exec, s[38:39]
	s_and_b64 s[38:39], exec, s[36:37]
	v_mov_b32_e32 v19, v16
	s_or_b64 s[34:35], s[38:39], s[34:35]
	v_mov_b32_e32 v16, v18
	s_andn2_b64 exec, exec, s[34:35]
	s_cbranch_execz .LBB0_17
.LBB0_48:                               ;   Parent Loop BB0_13 Depth=1
                                        ;     Parent Loop BB0_20 Depth=2
                                        ; =>    This Inner Loop Header: Depth=3
	ds_read_b32 v19, v17
	s_or_b64 s[36:37], s[36:37], exec
                                        ; implicit-def: $vgpr18
	s_waitcnt lgkmcnt(0)
	v_cmp_gt_u32_e32 vcc, v14, v19
	s_and_saveexec_b64 s[38:39], vcc
	s_cbranch_execz .LBB0_47
; %bb.49:                               ;   in Loop: Header=BB0_48 Depth=3
	v_cmp_gt_i32_e32 vcc, 2, v16
	s_andn2_b64 s[36:37], s[36:37], exec
	s_and_b64 s[40:41], vcc, exec
	ds_write_b32 v17, v19 offset:4
	v_add_u32_e32 v18, -1, v16
	v_add_u32_e32 v17, -4, v17
	v_mov_b32_e32 v16, 0
	s_or_b64 s[36:37], s[36:37], s[40:41]
	s_branch .LBB0_47
.LBB0_50:
	v_cmp_gt_u32_e32 vcc, 32, v0
	v_cmp_gt_u32_e64 s[0:1], s16, v5
	s_and_b64 s[0:1], vcc, s[0:1]
	s_waitcnt lgkmcnt(0)
	s_barrier
	s_and_saveexec_b64 s[2:3], s[0:1]
	s_cbranch_execz .LBB0_65
; %bb.51:
	s_lshl_b32 s0, s43, 5
	v_or_b32_e32 v0, s6, v4
	s_mul_i32 s0, s0, s7
	s_mov_b32 s8, 0
	s_cmp_lg_u32 s33, 0
	v_add_u32_e32 v5, s0, v0
	s_cbranch_scc0 .LBB0_66
; %bb.52:
	v_mul_lo_u32 v1, s33, v4
	s_cmp_gt_u32 s11, 31
	v_add_u32_e32 v0, s0, v0
	s_cselect_b64 s[4:5], -1, 0
	v_mul_lo_u32 v4, v0, s33
	s_lshl_b32 s0, s48, 2
	v_lshlrev_b32_e32 v1, 2, v1
	s_add_i32 s0, s0, 0
	v_add3_u32 v6, s0, v1, -4
	v_cndmask_b32_e64 v1, 0, 1, s[4:5]
	s_lshl_b32 s9, s33, 7
	s_mov_b64 s[2:3], 0
	v_cmp_ne_u32_e64 s[0:1], 1, v1
	v_mov_b32_e32 v2, 0
	s_branch .LBB0_54
.LBB0_53:                               ;   in Loop: Header=BB0_54 Depth=1
	s_or_b64 exec, exec, s[4:5]
	s_and_b64 s[4:5], exec, s[6:7]
	s_or_b64 s[2:3], s[4:5], s[2:3]
	s_andn2_b64 exec, exec, s[2:3]
	s_cbranch_execz .LBB0_62
.LBB0_54:                               ; =>This Loop Header: Depth=1
                                        ;     Child Loop BB0_57 Depth 2
	v_mov_b32_e32 v7, -1
	s_and_b64 vcc, exec, s[0:1]
	v_mov_b32_e32 v8, 0
	s_cbranch_vccnz .LBB0_60
; %bb.55:                               ;   in Loop: Header=BB0_54 Depth=1
	v_mov_b32_e32 v7, -1
	s_mov_b32 s6, 0
	v_mov_b32_e32 v1, 0
	v_mov_b32_e32 v8, v6
	;; [unrolled: 1-line block ×3, first 2 shown]
	s_branch .LBB0_57
.LBB0_56:                               ;   in Loop: Header=BB0_57 Depth=2
	s_or_b64 exec, exec, s[4:5]
	s_add_i32 s6, s6, 1
	v_add_u32_e32 v9, 32, v9
	s_cmp_eq_u32 s42, s6
	v_add_u32_e32 v8, s9, v8
	s_cbranch_scc1 .LBB0_59
.LBB0_57:                               ;   Parent Loop BB0_54 Depth=1
                                        ; =>  This Inner Loop Header: Depth=2
	ds_read_u8 v10, v9
	s_waitcnt lgkmcnt(0)
	v_cmp_ne_u16_e32 vcc, 0, v10
	s_and_saveexec_b64 s[4:5], vcc
	s_cbranch_execz .LBB0_56
; %bb.58:                               ;   in Loop: Header=BB0_57 Depth=2
	v_and_b32_e32 v10, 0xffff, v10
	v_lshl_add_u32 v10, v10, 2, v8
	ds_read_b32 v10, v10
	v_mov_b32_e32 v11, s6
	s_waitcnt lgkmcnt(0)
	v_cmp_lt_u32_e32 vcc, v10, v7
	v_cndmask_b32_e32 v1, v1, v11, vcc
	v_min_u32_e32 v7, v10, v7
	s_branch .LBB0_56
.LBB0_59:                               ;   in Loop: Header=BB0_54 Depth=1
	v_lshlrev_b32_e32 v8, 5, v1
.LBB0_60:                               ;   in Loop: Header=BB0_54 Depth=1
	v_cmp_ne_u32_e32 vcc, -1, v7
	s_mov_b64 s[6:7], -1
	v_mov_b32_e32 v1, s8
	s_and_saveexec_b64 s[4:5], vcc
	s_cbranch_execz .LBB0_53
; %bb.61:                               ;   in Loop: Header=BB0_54 Depth=1
	v_add_u32_e32 v10, v3, v8
	ds_read_u8 v11, v10
	v_add_u32_e32 v1, s8, v4
	v_lshlrev_b64 v[8:9], 1, v[1:2]
	s_add_i32 s8, s8, 1
	s_cmp_eq_u32 s8, s33
	v_mov_b32_e32 v12, s13
	s_waitcnt lgkmcnt(0)
	v_add_u16_e32 v1, -1, v11
	v_add_co_u32_e32 v8, vcc, s12, v8
	s_cselect_b64 s[6:7], -1, 0
	ds_write_b8 v10, v1
	v_addc_co_u32_e32 v9, vcc, v12, v9, vcc
	v_mov_b32_e32 v1, s33
	s_orn2_b64 s[6:7], s[6:7], exec
	global_store_short v[8:9], v7, off
	s_branch .LBB0_53
.LBB0_62:
	s_or_b64 exec, exec, s[2:3]
	v_add_u32_e32 v1, 1, v1
	v_ffbh_u32_e32 v1, v1
	s_branch .LBB0_64
.LBB0_63:
	v_mov_b32_e32 v1, 31
	v_mov_b32_e32 v0, v5
.LBB0_64:
	s_brev_b32 s0, 1
	v_lshrrev_b32_e64 v1, v1, s0
	v_add_u32_e32 v2, -1, v1
	v_mov_b32_e32 v1, 0
	v_lshlrev_b64 v[0:1], 2, v[0:1]
	v_mov_b32_e32 v3, s15
	v_add_co_u32_e32 v0, vcc, s14, v0
	v_addc_co_u32_e32 v1, vcc, v3, v1, vcc
	global_store_dword v[0:1], v2, off
.LBB0_65:
	s_endpgm
.LBB0_66:
                                        ; implicit-def: $vgpr1
                                        ; implicit-def: $vgpr0
	s_cbranch_execnz .LBB0_63
	s_branch .LBB0_64
	.section	.rodata,"a",@progbits
	.p2align	6, 0x0
	.amdhsa_kernel _Z14block_matchingPKhPtPj15HIP_vector_typeIjLj2EES4_6ParamsS4_
		.amdhsa_group_segment_fixed_size 0
		.amdhsa_private_segment_fixed_size 0
		.amdhsa_kernarg_size 336
		.amdhsa_user_sgpr_count 6
		.amdhsa_user_sgpr_private_segment_buffer 1
		.amdhsa_user_sgpr_dispatch_ptr 0
		.amdhsa_user_sgpr_queue_ptr 0
		.amdhsa_user_sgpr_kernarg_segment_ptr 1
		.amdhsa_user_sgpr_dispatch_id 0
		.amdhsa_user_sgpr_flat_scratch_init 0
		.amdhsa_user_sgpr_private_segment_size 0
		.amdhsa_uses_dynamic_stack 0
		.amdhsa_system_sgpr_private_segment_wavefront_offset 0
		.amdhsa_system_sgpr_workgroup_id_x 1
		.amdhsa_system_sgpr_workgroup_id_y 1
		.amdhsa_system_sgpr_workgroup_id_z 0
		.amdhsa_system_sgpr_workgroup_info 0
		.amdhsa_system_vgpr_workitem_id 0
		.amdhsa_next_free_vgpr 23
		.amdhsa_next_free_sgpr 56
		.amdhsa_reserve_vcc 1
		.amdhsa_reserve_flat_scratch 0
		.amdhsa_float_round_mode_32 0
		.amdhsa_float_round_mode_16_64 0
		.amdhsa_float_denorm_mode_32 3
		.amdhsa_float_denorm_mode_16_64 3
		.amdhsa_dx10_clamp 1
		.amdhsa_ieee_mode 1
		.amdhsa_fp16_overflow 0
		.amdhsa_exception_fp_ieee_invalid_op 0
		.amdhsa_exception_fp_denorm_src 0
		.amdhsa_exception_fp_ieee_div_zero 0
		.amdhsa_exception_fp_ieee_overflow 0
		.amdhsa_exception_fp_ieee_underflow 0
		.amdhsa_exception_fp_ieee_inexact 0
		.amdhsa_exception_int_div_zero 0
	.end_amdhsa_kernel
	.text
.Lfunc_end0:
	.size	_Z14block_matchingPKhPtPj15HIP_vector_typeIjLj2EES4_6ParamsS4_, .Lfunc_end0-_Z14block_matchingPKhPtPj15HIP_vector_typeIjLj2EES4_6ParamsS4_
                                        ; -- End function
	.set _Z14block_matchingPKhPtPj15HIP_vector_typeIjLj2EES4_6ParamsS4_.num_vgpr, 23
	.set _Z14block_matchingPKhPtPj15HIP_vector_typeIjLj2EES4_6ParamsS4_.num_agpr, 0
	.set _Z14block_matchingPKhPtPj15HIP_vector_typeIjLj2EES4_6ParamsS4_.numbered_sgpr, 56
	.set _Z14block_matchingPKhPtPj15HIP_vector_typeIjLj2EES4_6ParamsS4_.num_named_barrier, 0
	.set _Z14block_matchingPKhPtPj15HIP_vector_typeIjLj2EES4_6ParamsS4_.private_seg_size, 0
	.set _Z14block_matchingPKhPtPj15HIP_vector_typeIjLj2EES4_6ParamsS4_.uses_vcc, 1
	.set _Z14block_matchingPKhPtPj15HIP_vector_typeIjLj2EES4_6ParamsS4_.uses_flat_scratch, 0
	.set _Z14block_matchingPKhPtPj15HIP_vector_typeIjLj2EES4_6ParamsS4_.has_dyn_sized_stack, 0
	.set _Z14block_matchingPKhPtPj15HIP_vector_typeIjLj2EES4_6ParamsS4_.has_recursion, 0
	.set _Z14block_matchingPKhPtPj15HIP_vector_typeIjLj2EES4_6ParamsS4_.has_indirect_call, 0
	.section	.AMDGPU.csdata,"",@progbits
; Kernel info:
; codeLenInByte = 2100
; TotalNumSgprs: 60
; NumVgprs: 23
; ScratchSize: 0
; MemoryBound: 0
; FloatMode: 240
; IeeeMode: 1
; LDSByteSize: 0 bytes/workgroup (compile time only)
; SGPRBlocks: 7
; VGPRBlocks: 5
; NumSGPRsForWavesPerEU: 60
; NumVGPRsForWavesPerEU: 23
; Occupancy: 10
; WaveLimiterHint : 0
; COMPUTE_PGM_RSRC2:SCRATCH_EN: 0
; COMPUTE_PGM_RSRC2:USER_SGPR: 6
; COMPUTE_PGM_RSRC2:TRAP_HANDLER: 0
; COMPUTE_PGM_RSRC2:TGID_X_EN: 1
; COMPUTE_PGM_RSRC2:TGID_Y_EN: 1
; COMPUTE_PGM_RSRC2:TGID_Z_EN: 0
; COMPUTE_PGM_RSRC2:TIDIG_COMP_CNT: 0
	.section	.AMDGPU.gpr_maximums,"",@progbits
	.set amdgpu.max_num_vgpr, 0
	.set amdgpu.max_num_agpr, 0
	.set amdgpu.max_num_sgpr, 0
	.section	.AMDGPU.csdata,"",@progbits
	.type	__hip_cuid_1685fc7712b3f798,@object ; @__hip_cuid_1685fc7712b3f798
	.section	.bss,"aw",@nobits
	.globl	__hip_cuid_1685fc7712b3f798
__hip_cuid_1685fc7712b3f798:
	.byte	0                               ; 0x0
	.size	__hip_cuid_1685fc7712b3f798, 1

	.ident	"AMD clang version 22.0.0git (https://github.com/RadeonOpenCompute/llvm-project roc-7.2.4 26084 f58b06dce1f9c15707c5f808fd002e18c2accf7e)"
	.section	".note.GNU-stack","",@progbits
	.addrsig
	.addrsig_sym __hip_cuid_1685fc7712b3f798
	.amdgpu_metadata
---
amdhsa.kernels:
  - .args:
      - .actual_access:  read_only
        .address_space:  global
        .offset:         0
        .size:           8
        .value_kind:     global_buffer
      - .actual_access:  write_only
        .address_space:  global
        .offset:         8
        .size:           8
        .value_kind:     global_buffer
      - .actual_access:  write_only
        .address_space:  global
        .offset:         16
        .size:           8
        .value_kind:     global_buffer
      - .offset:         24
        .size:           8
        .value_kind:     by_value
      - .offset:         32
        .size:           8
        .value_kind:     by_value
      - .offset:         40
        .size:           28
        .value_kind:     by_value
      - .offset:         72
        .size:           8
        .value_kind:     by_value
      - .offset:         80
        .size:           4
        .value_kind:     hidden_block_count_x
      - .offset:         84
        .size:           4
        .value_kind:     hidden_block_count_y
      - .offset:         88
        .size:           4
        .value_kind:     hidden_block_count_z
      - .offset:         92
        .size:           2
        .value_kind:     hidden_group_size_x
      - .offset:         94
        .size:           2
        .value_kind:     hidden_group_size_y
      - .offset:         96
        .size:           2
        .value_kind:     hidden_group_size_z
      - .offset:         98
        .size:           2
        .value_kind:     hidden_remainder_x
      - .offset:         100
        .size:           2
        .value_kind:     hidden_remainder_y
      - .offset:         102
        .size:           2
        .value_kind:     hidden_remainder_z
      - .offset:         120
        .size:           8
        .value_kind:     hidden_global_offset_x
      - .offset:         128
        .size:           8
        .value_kind:     hidden_global_offset_y
      - .offset:         136
        .size:           8
        .value_kind:     hidden_global_offset_z
      - .offset:         144
        .size:           2
        .value_kind:     hidden_grid_dims
      - .offset:         200
        .size:           4
        .value_kind:     hidden_dynamic_lds_size
    .group_segment_fixed_size: 0
    .kernarg_segment_align: 8
    .kernarg_segment_size: 336
    .language:       OpenCL C
    .language_version:
      - 2
      - 0
    .max_flat_workgroup_size: 1024
    .name:           _Z14block_matchingPKhPtPj15HIP_vector_typeIjLj2EES4_6ParamsS4_
    .private_segment_fixed_size: 0
    .sgpr_count:     60
    .sgpr_spill_count: 0
    .symbol:         _Z14block_matchingPKhPtPj15HIP_vector_typeIjLj2EES4_6ParamsS4_.kd
    .uniform_work_group_size: 1
    .uses_dynamic_stack: false
    .vgpr_count:     23
    .vgpr_spill_count: 0
    .wavefront_size: 64
amdhsa.target:   amdgcn-amd-amdhsa--gfx906
amdhsa.version:
  - 1
  - 2
...

	.end_amdgpu_metadata
